;; amdgpu-corpus repo=ROCm/rocm-examples kind=compiled arch=gfx1100 opt=O3
	.text
	.amdgcn_target "amdgcn-amd-amdhsa--gfx1100"
	.amdhsa_code_object_version 6
	.protected	_Z21matrix_multiply_naivePfS_S_iii ; -- Begin function _Z21matrix_multiply_naivePfS_S_iii
	.globl	_Z21matrix_multiply_naivePfS_S_iii
	.p2align	8
	.type	_Z21matrix_multiply_naivePfS_S_iii,@function
_Z21matrix_multiply_naivePfS_S_iii:     ; @_Z21matrix_multiply_naivePfS_S_iii
; %bb.0:
	s_clause 0x1
	s_load_b32 s2, s[0:1], 0x34
	s_load_b128 s[4:7], s[0:1], 0x18
	v_and_b32_e32 v2, 0x3ff, v0
	v_bfe_u32 v3, v0, 10, 10
	s_waitcnt lgkmcnt(0)
	s_lshr_b32 s3, s2, 16
	s_and_b32 s2, s2, 0xffff
	s_delay_alu instid0(VALU_DEP_1) | instid1(SALU_CYCLE_1)
	v_mad_u64_u32 v[0:1], null, s14, s2, v[2:3]
	v_mad_u64_u32 v[1:2], null, s15, s3, v[3:4]
	s_delay_alu instid0(VALU_DEP_2) | instskip(NEXT) | instid1(VALU_DEP_2)
	v_cmp_gt_i32_e32 vcc_lo, s5, v0
	v_cmp_gt_i32_e64 s2, s4, v1
	s_delay_alu instid0(VALU_DEP_1) | instskip(NEXT) | instid1(SALU_CYCLE_1)
	s_and_b32 s2, vcc_lo, s2
	s_and_saveexec_b32 s3, s2
	s_cbranch_execz .LBB0_6
; %bb.1:
	s_clause 0x1
	s_load_b128 s[8:11], s[0:1], 0x0
	s_load_b64 s[0:1], s[0:1], 0x10
	s_cmp_lt_i32 s6, 1
	s_cbranch_scc1 .LBB0_4
; %bb.2:
	v_mul_lo_u32 v2, v1, s6
	v_mov_b32_e32 v6, 0
	v_mov_b32_e32 v4, v0
	s_delay_alu instid0(VALU_DEP_3) | instskip(NEXT) | instid1(VALU_DEP_1)
	v_ashrrev_i32_e32 v3, 31, v2
	v_lshlrev_b64 v[2:3], 2, v[2:3]
	s_waitcnt lgkmcnt(0)
	s_delay_alu instid0(VALU_DEP_1) | instskip(NEXT) | instid1(VALU_DEP_2)
	v_add_co_u32 v2, vcc_lo, s8, v2
	v_add_co_ci_u32_e32 v3, vcc_lo, s9, v3, vcc_lo
	.p2align	6
.LBB0_3:                                ; =>This Inner Loop Header: Depth=1
	v_ashrrev_i32_e32 v5, 31, v4
	s_add_i32 s6, s6, -1
	s_delay_alu instid0(SALU_CYCLE_1) | instskip(NEXT) | instid1(VALU_DEP_1)
	s_cmp_eq_u32 s6, 0
	v_lshlrev_b64 v[7:8], 2, v[4:5]
	v_add_nc_u32_e32 v4, s5, v4
	s_delay_alu instid0(VALU_DEP_2) | instskip(NEXT) | instid1(VALU_DEP_3)
	v_add_co_u32 v7, vcc_lo, s10, v7
	v_add_co_ci_u32_e32 v8, vcc_lo, s11, v8, vcc_lo
	global_load_b32 v5, v[2:3], off
	global_load_b32 v7, v[7:8], off
	v_add_co_u32 v2, vcc_lo, v2, 4
	v_add_co_ci_u32_e32 v3, vcc_lo, 0, v3, vcc_lo
	s_waitcnt vmcnt(0)
	v_fmac_f32_e32 v6, v5, v7
	s_cbranch_scc0 .LBB0_3
	s_branch .LBB0_5
.LBB0_4:
	v_mov_b32_e32 v6, 0
.LBB0_5:
	v_mad_u64_u32 v[2:3], null, v1, s5, v[0:1]
	s_delay_alu instid0(VALU_DEP_1) | instskip(NEXT) | instid1(VALU_DEP_1)
	v_ashrrev_i32_e32 v3, 31, v2
	v_lshlrev_b64 v[0:1], 2, v[2:3]
	s_waitcnt lgkmcnt(0)
	s_delay_alu instid0(VALU_DEP_1) | instskip(NEXT) | instid1(VALU_DEP_2)
	v_add_co_u32 v0, vcc_lo, s0, v0
	v_add_co_ci_u32_e32 v1, vcc_lo, s1, v1, vcc_lo
	global_store_b32 v[0:1], v6, off
.LBB0_6:
	s_nop 0
	s_sendmsg sendmsg(MSG_DEALLOC_VGPRS)
	s_endpgm
	.section	.rodata,"a",@progbits
	.p2align	6, 0x0
	.amdhsa_kernel _Z21matrix_multiply_naivePfS_S_iii
		.amdhsa_group_segment_fixed_size 0
		.amdhsa_private_segment_fixed_size 0
		.amdhsa_kernarg_size 296
		.amdhsa_user_sgpr_count 14
		.amdhsa_user_sgpr_dispatch_ptr 0
		.amdhsa_user_sgpr_queue_ptr 0
		.amdhsa_user_sgpr_kernarg_segment_ptr 1
		.amdhsa_user_sgpr_dispatch_id 0
		.amdhsa_user_sgpr_private_segment_size 0
		.amdhsa_wavefront_size32 1
		.amdhsa_uses_dynamic_stack 0
		.amdhsa_enable_private_segment 0
		.amdhsa_system_sgpr_workgroup_id_x 1
		.amdhsa_system_sgpr_workgroup_id_y 1
		.amdhsa_system_sgpr_workgroup_id_z 0
		.amdhsa_system_sgpr_workgroup_info 0
		.amdhsa_system_vgpr_workitem_id 1
		.amdhsa_next_free_vgpr 9
		.amdhsa_next_free_sgpr 16
		.amdhsa_reserve_vcc 1
		.amdhsa_float_round_mode_32 0
		.amdhsa_float_round_mode_16_64 0
		.amdhsa_float_denorm_mode_32 3
		.amdhsa_float_denorm_mode_16_64 3
		.amdhsa_dx10_clamp 1
		.amdhsa_ieee_mode 1
		.amdhsa_fp16_overflow 0
		.amdhsa_workgroup_processor_mode 1
		.amdhsa_memory_ordered 1
		.amdhsa_forward_progress 0
		.amdhsa_shared_vgpr_count 0
		.amdhsa_exception_fp_ieee_invalid_op 0
		.amdhsa_exception_fp_denorm_src 0
		.amdhsa_exception_fp_ieee_div_zero 0
		.amdhsa_exception_fp_ieee_overflow 0
		.amdhsa_exception_fp_ieee_underflow 0
		.amdhsa_exception_fp_ieee_inexact 0
		.amdhsa_exception_int_div_zero 0
	.end_amdhsa_kernel
	.text
.Lfunc_end0:
	.size	_Z21matrix_multiply_naivePfS_S_iii, .Lfunc_end0-_Z21matrix_multiply_naivePfS_S_iii
                                        ; -- End function
	.section	.AMDGPU.csdata,"",@progbits
; Kernel info:
; codeLenInByte = 340
; NumSgprs: 18
; NumVgprs: 9
; ScratchSize: 0
; MemoryBound: 0
; FloatMode: 240
; IeeeMode: 1
; LDSByteSize: 0 bytes/workgroup (compile time only)
; SGPRBlocks: 2
; VGPRBlocks: 1
; NumSGPRsForWavesPerEU: 18
; NumVGPRsForWavesPerEU: 9
; Occupancy: 16
; WaveLimiterHint : 0
; COMPUTE_PGM_RSRC2:SCRATCH_EN: 0
; COMPUTE_PGM_RSRC2:USER_SGPR: 14
; COMPUTE_PGM_RSRC2:TRAP_HANDLER: 0
; COMPUTE_PGM_RSRC2:TGID_X_EN: 1
; COMPUTE_PGM_RSRC2:TGID_Y_EN: 1
; COMPUTE_PGM_RSRC2:TGID_Z_EN: 0
; COMPUTE_PGM_RSRC2:TIDIG_COMP_CNT: 1
	.text
	.protected	_Z26matrix_multiply_lds_tilingPfS_S_iii ; -- Begin function _Z26matrix_multiply_lds_tilingPfS_S_iii
	.globl	_Z26matrix_multiply_lds_tilingPfS_S_iii
	.p2align	8
	.type	_Z26matrix_multiply_lds_tilingPfS_S_iii,@function
_Z26matrix_multiply_lds_tilingPfS_S_iii: ; @_Z26matrix_multiply_lds_tilingPfS_S_iii
; %bb.0:
	s_clause 0x2
	s_load_b128 s[4:7], s[0:1], 0x18
	s_load_b128 s[8:11], s[0:1], 0x0
	s_load_b64 s[2:3], s[0:1], 0x10
	v_bfe_u32 v4, v0, 10, 10
	v_and_b32_e32 v5, 0x3ff, v0
	s_lshl_b32 s1, s14, 4
	s_delay_alu instid0(VALU_DEP_2) | instskip(NEXT) | instid1(VALU_DEP_2)
	v_lshl_add_u32 v3, s15, 4, v4
	v_add_nc_u32_e32 v0, s1, v5
	s_waitcnt lgkmcnt(0)
	s_delay_alu instid0(VALU_DEP_2) | instskip(NEXT) | instid1(VALU_DEP_2)
	v_cmp_gt_i32_e32 vcc_lo, s4, v3
	v_cmp_gt_i32_e64 s0, s5, v0
	s_cmp_lt_i32 s6, 1
	s_cbranch_scc1 .LBB1_7
; %bb.1:
	v_dual_mov_b32 v6, 0 :: v_dual_lshlrev_b32 v1, 2, v5
	v_mul_lo_u32 v2, v4, s5
	v_lshlrev_b32_e32 v7, 6, v4
	v_mul_lo_u32 v9, v3, s6
	s_delay_alu instid0(VALU_DEP_4)
	v_add_nc_u32_e32 v8, 0x400, v1
	s_add_i32 s7, s6, 15
	s_lshl_b32 s12, s5, 4
	v_add_nc_u32_e32 v10, v7, v1
	s_lshr_b32 s7, s7, 4
	v_add3_u32 v1, v5, v2, s1
	v_add_nc_u32_e32 v11, v8, v7
	s_branch .LBB1_3
.LBB1_2:                                ;   in Loop: Header=BB1_3 Depth=1
	s_or_b32 exec_lo, exec_lo, s13
	s_waitcnt vmcnt(0)
	ds_store_b32 v11, v12
	s_waitcnt lgkmcnt(0)
	s_barrier
	buffer_gl0_inv
	ds_load_2addr_b32 v[20:21], v8 offset1:16
	ds_load_b128 v[12:15], v7
	ds_load_2addr_b32 v[22:23], v8 offset0:32 offset1:48
	ds_load_b128 v[16:19], v7 offset:16
	ds_load_2addr_b32 v[24:25], v8 offset0:64 offset1:80
	v_add_nc_u32_e32 v4, 16, v4
	s_add_i32 s7, s7, -1
	v_add_nc_u32_e32 v5, 16, v5
	s_cmp_eq_u32 s7, 0
	s_waitcnt lgkmcnt(3)
	v_dual_fmac_f32 v6, v12, v20 :: v_dual_add_nc_u32 v1, s12, v1
	s_delay_alu instid0(VALU_DEP_1) | instskip(SKIP_3) | instid1(VALU_DEP_1)
	v_fmac_f32_e32 v6, v13, v21
	ds_load_2addr_b32 v[20:21], v8 offset0:96 offset1:112
	s_waitcnt lgkmcnt(3)
	v_fmac_f32_e32 v6, v14, v22
	v_fmac_f32_e32 v6, v15, v23
	ds_load_2addr_b32 v[22:23], v8 offset0:128 offset1:144
	ds_load_b128 v[12:15], v7 offset:32
	s_waitcnt lgkmcnt(3)
	v_fmac_f32_e32 v6, v16, v24
	s_delay_alu instid0(VALU_DEP_1) | instskip(SKIP_3) | instid1(VALU_DEP_1)
	v_fmac_f32_e32 v6, v17, v25
	ds_load_2addr_b32 v[24:25], v8 offset0:160 offset1:176
	s_waitcnt lgkmcnt(3)
	v_fmac_f32_e32 v6, v18, v20
	v_fmac_f32_e32 v6, v19, v21
	ds_load_b128 v[16:19], v7 offset:48
	ds_load_2addr_b32 v[20:21], v8 offset0:192 offset1:208
	s_waitcnt lgkmcnt(3)
	v_fmac_f32_e32 v6, v12, v22
	s_delay_alu instid0(VALU_DEP_1)
	v_fmac_f32_e32 v6, v13, v23
	ds_load_2addr_b32 v[12:13], v8 offset0:224 offset1:240
	s_waitcnt lgkmcnt(0)
	s_barrier
	buffer_gl0_inv
	v_fmac_f32_e32 v6, v14, v24
	s_delay_alu instid0(VALU_DEP_1) | instskip(NEXT) | instid1(VALU_DEP_1)
	v_fmac_f32_e32 v6, v15, v25
	v_fmac_f32_e32 v6, v16, v20
	s_delay_alu instid0(VALU_DEP_1) | instskip(NEXT) | instid1(VALU_DEP_1)
	v_fmac_f32_e32 v6, v17, v21
	v_fmac_f32_e32 v6, v18, v12
	s_delay_alu instid0(VALU_DEP_1)
	v_fmac_f32_e32 v6, v19, v13
	s_cbranch_scc1 .LBB1_8
.LBB1_3:                                ; =>This Inner Loop Header: Depth=1
	v_cmp_gt_i32_e64 s1, s6, v5
	v_mov_b32_e32 v2, 0
	s_delay_alu instid0(VALU_DEP_2) | instskip(NEXT) | instid1(SALU_CYCLE_1)
	s_and_b32 s1, vcc_lo, s1
	s_and_saveexec_b32 s13, s1
	s_cbranch_execz .LBB1_5
; %bb.4:                                ;   in Loop: Header=BB1_3 Depth=1
	v_add_nc_u32_e32 v12, v9, v5
	s_delay_alu instid0(VALU_DEP_1) | instskip(NEXT) | instid1(VALU_DEP_1)
	v_ashrrev_i32_e32 v13, 31, v12
	v_lshlrev_b64 v[12:13], 2, v[12:13]
	s_delay_alu instid0(VALU_DEP_1) | instskip(NEXT) | instid1(VALU_DEP_1)
	v_add_co_u32 v12, s1, s8, v12
	v_add_co_ci_u32_e64 v13, s1, s9, v13, s1
	global_load_b32 v2, v[12:13], off
.LBB1_5:                                ;   in Loop: Header=BB1_3 Depth=1
	s_or_b32 exec_lo, exec_lo, s13
	v_cmp_gt_i32_e64 s1, s6, v4
	v_mov_b32_e32 v12, 0
	s_waitcnt vmcnt(0)
	ds_store_b32 v10, v2
	s_and_b32 s1, s0, s1
	s_delay_alu instid0(SALU_CYCLE_1)
	s_and_saveexec_b32 s13, s1
	s_cbranch_execz .LBB1_2
; %bb.6:                                ;   in Loop: Header=BB1_3 Depth=1
	v_ashrrev_i32_e32 v2, 31, v1
	s_delay_alu instid0(VALU_DEP_1) | instskip(NEXT) | instid1(VALU_DEP_1)
	v_lshlrev_b64 v[12:13], 2, v[1:2]
	v_add_co_u32 v12, s1, s10, v12
	s_delay_alu instid0(VALU_DEP_1)
	v_add_co_ci_u32_e64 v13, s1, s11, v13, s1
	global_load_b32 v12, v[12:13], off
	s_branch .LBB1_2
.LBB1_7:
	v_mov_b32_e32 v6, 0
.LBB1_8:
	v_cmp_gt_i32_e32 vcc_lo, s4, v3
	v_cmp_gt_i32_e64 s0, s5, v0
	s_delay_alu instid0(VALU_DEP_1) | instskip(NEXT) | instid1(SALU_CYCLE_1)
	s_and_b32 s0, vcc_lo, s0
	s_and_saveexec_b32 s1, s0
	s_cbranch_execz .LBB1_10
; %bb.9:
	v_mad_u64_u32 v[1:2], null, v3, s5, v[0:1]
	s_delay_alu instid0(VALU_DEP_1) | instskip(NEXT) | instid1(VALU_DEP_1)
	v_ashrrev_i32_e32 v2, 31, v1
	v_lshlrev_b64 v[0:1], 2, v[1:2]
	s_delay_alu instid0(VALU_DEP_1) | instskip(NEXT) | instid1(VALU_DEP_2)
	v_add_co_u32 v0, vcc_lo, s2, v0
	v_add_co_ci_u32_e32 v1, vcc_lo, s3, v1, vcc_lo
	global_store_b32 v[0:1], v6, off
.LBB1_10:
	s_nop 0
	s_sendmsg sendmsg(MSG_DEALLOC_VGPRS)
	s_endpgm
	.section	.rodata,"a",@progbits
	.p2align	6, 0x0
	.amdhsa_kernel _Z26matrix_multiply_lds_tilingPfS_S_iii
		.amdhsa_group_segment_fixed_size 2048
		.amdhsa_private_segment_fixed_size 0
		.amdhsa_kernarg_size 36
		.amdhsa_user_sgpr_count 14
		.amdhsa_user_sgpr_dispatch_ptr 0
		.amdhsa_user_sgpr_queue_ptr 0
		.amdhsa_user_sgpr_kernarg_segment_ptr 1
		.amdhsa_user_sgpr_dispatch_id 0
		.amdhsa_user_sgpr_private_segment_size 0
		.amdhsa_wavefront_size32 1
		.amdhsa_uses_dynamic_stack 0
		.amdhsa_enable_private_segment 0
		.amdhsa_system_sgpr_workgroup_id_x 1
		.amdhsa_system_sgpr_workgroup_id_y 1
		.amdhsa_system_sgpr_workgroup_id_z 0
		.amdhsa_system_sgpr_workgroup_info 0
		.amdhsa_system_vgpr_workitem_id 1
		.amdhsa_next_free_vgpr 26
		.amdhsa_next_free_sgpr 16
		.amdhsa_reserve_vcc 1
		.amdhsa_float_round_mode_32 0
		.amdhsa_float_round_mode_16_64 0
		.amdhsa_float_denorm_mode_32 3
		.amdhsa_float_denorm_mode_16_64 3
		.amdhsa_dx10_clamp 1
		.amdhsa_ieee_mode 1
		.amdhsa_fp16_overflow 0
		.amdhsa_workgroup_processor_mode 1
		.amdhsa_memory_ordered 1
		.amdhsa_forward_progress 0
		.amdhsa_shared_vgpr_count 0
		.amdhsa_exception_fp_ieee_invalid_op 0
		.amdhsa_exception_fp_denorm_src 0
		.amdhsa_exception_fp_ieee_div_zero 0
		.amdhsa_exception_fp_ieee_overflow 0
		.amdhsa_exception_fp_ieee_underflow 0
		.amdhsa_exception_fp_ieee_inexact 0
		.amdhsa_exception_int_div_zero 0
	.end_amdhsa_kernel
	.text
.Lfunc_end1:
	.size	_Z26matrix_multiply_lds_tilingPfS_S_iii, .Lfunc_end1-_Z26matrix_multiply_lds_tilingPfS_S_iii
                                        ; -- End function
	.section	.AMDGPU.csdata,"",@progbits
; Kernel info:
; codeLenInByte = 700
; NumSgprs: 18
; NumVgprs: 26
; ScratchSize: 0
; MemoryBound: 0
; FloatMode: 240
; IeeeMode: 1
; LDSByteSize: 2048 bytes/workgroup (compile time only)
; SGPRBlocks: 2
; VGPRBlocks: 3
; NumSGPRsForWavesPerEU: 18
; NumVGPRsForWavesPerEU: 26
; Occupancy: 16
; WaveLimiterHint : 0
; COMPUTE_PGM_RSRC2:SCRATCH_EN: 0
; COMPUTE_PGM_RSRC2:USER_SGPR: 14
; COMPUTE_PGM_RSRC2:TRAP_HANDLER: 0
; COMPUTE_PGM_RSRC2:TGID_X_EN: 1
; COMPUTE_PGM_RSRC2:TGID_Y_EN: 1
; COMPUTE_PGM_RSRC2:TGID_Z_EN: 0
; COMPUTE_PGM_RSRC2:TIDIG_COMP_CNT: 1
	.text
	.protected	_Z31matrix_multiply_register_tilingPfS_S_iii ; -- Begin function _Z31matrix_multiply_register_tilingPfS_S_iii
	.globl	_Z31matrix_multiply_register_tilingPfS_S_iii
	.p2align	8
	.type	_Z31matrix_multiply_register_tilingPfS_S_iii,@function
_Z31matrix_multiply_register_tilingPfS_S_iii: ; @_Z31matrix_multiply_register_tilingPfS_S_iii
; %bb.0:
	s_clause 0x1
	s_load_b32 s2, s[0:1], 0x34
	s_load_b128 s[20:23], s[0:1], 0x18
	v_dual_mov_b32 v28, 0 :: v_dual_and_b32 v1, 0x3ff, v0
	v_bfe_u32 v0, v0, 10, 10
	s_clause 0x1
	s_load_b128 s[24:27], s[0:1], 0x0
	s_load_b64 s[18:19], s[0:1], 0x10
	v_dual_mov_b32 v21, 0 :: v_dual_mov_b32 v22, 0
	v_dual_mov_b32 v23, 0 :: v_dual_mov_b32 v24, 0
	v_dual_mov_b32 v25, 0 :: v_dual_mov_b32 v26, 0
	v_dual_mov_b32 v27, 0 :: v_dual_mov_b32 v30, 0
	v_dual_mov_b32 v29, 0 :: v_dual_mov_b32 v34, 0
	v_dual_mov_b32 v35, 0 :: v_dual_mov_b32 v40, 0
	s_lshl_b32 s17, s15, 6
	s_waitcnt lgkmcnt(0)
	s_lshl_b32 s23, s14, 5
	s_and_b32 s2, s2, 0xffff
	s_cmp_lt_i32 s22, 1
	v_mad_u32_u24 v0, v0, s2, v1
	v_mov_b32_e32 v33, 0
	s_mov_b32 s28, 0
	v_mov_b32_e32 v36, 0
	v_mov_b32_e32 v42, 0
	v_and_b32_e32 v2, 28, v0
	v_lshlrev_b32_e32 v1, 2, v0
	v_lshrrev_b32_e32 v3, 1, v0
	s_delay_alu instid0(VALU_DEP_2) | instskip(NEXT) | instid1(VALU_DEP_2)
	v_and_b32_e32 v1, 12, v1
	v_and_or_b32 v31, 0x3ffffe0, v3, v2
	s_delay_alu instid0(VALU_DEP_2)
	v_and_or_b32 v32, v3, 16, v1
	s_cbranch_scc1 .LBB2_75
; %bb.1:
	v_dual_mov_b32 v42, 0 :: v_dual_and_b32 v1, 31, v0
	v_dual_mov_b32 v62, 0 :: v_dual_add_nc_u32 v3, 0x80, v0
	v_dual_mov_b32 v35, 0 :: v_dual_and_b32 v12, 15, v0
	s_delay_alu instid0(VALU_DEP_3)
	v_or_b32_e32 v4, s23, v1
	v_dual_mov_b32 v33, 0 :: v_dual_add_nc_u32 v6, 0x100, v0
	v_dual_mov_b32 v25, 0 :: v_dual_add_nc_u32 v10, 0x180, v0
	v_lshrrev_b32_e32 v2, 4, v0
	v_lshrrev_b32_e32 v7, 4, v3
	v_cmp_gt_i32_e64 s15, s21, v4
	v_dual_mov_b32 v29, 0 :: v_dual_lshlrev_b32 v4, 2, v12
	v_lshrrev_b32_e32 v9, 4, v6
	v_lshrrev_b32_e32 v11, 4, v10
	v_dual_mov_b32 v36, 0 :: v_dual_add_nc_u32 v13, 0x200, v0
	v_add_nc_u32_e32 v14, 0x300, v0
	v_dual_mov_b32 v40, 0 :: v_dual_add_nc_u32 v5, s17, v2
	v_dual_mov_b32 v27, 0 :: v_dual_add_nc_u32 v8, s17, v7
	v_mad_u32_u24 v37, 0x50, v2, v4
	v_dual_mov_b32 v23, 0 :: v_dual_add_nc_u32 v2, s17, v9
	v_mad_u32_u24 v38, 0x50, v7, v4
	v_dual_mov_b32 v34, 0 :: v_dual_add_nc_u32 v7, s17, v11
	v_lshrrev_b32_e32 v13, 4, v13
	v_mad_u32_u24 v39, 0x50, v9, v4
	v_dual_mov_b32 v30, 0 :: v_dual_add_nc_u32 v9, 0x280, v0
	v_mad_u32_u24 v41, 0x50, v11, v4
	v_lshrrev_b32_e32 v11, 4, v14
	v_add_nc_u32_e32 v14, 0x380, v0
	v_add_nc_u32_e32 v18, s17, v13
	v_lshrrev_b32_e32 v9, 4, v9
	v_mad_u32_u24 v43, 0x50, v13, v4
	v_mov_b32_e32 v26, 0
	v_lshrrev_b32_e32 v13, 4, v14
	v_add_nc_u32_e32 v16, s17, v11
	v_dual_mov_b32 v28, 0 :: v_dual_add_nc_u32 v17, s17, v9
	v_mad_u32_u24 v44, 0x50, v9, v4
	s_delay_alu instid0(VALU_DEP_4)
	v_add_nc_u32_e32 v9, s17, v13
	v_mad_u32_u24 v47, 0x50, v13, v4
	v_mad_u32_u24 v45, 0x50, v11, v4
	v_lshrrev_b32_e32 v46, 5, v0
	v_dual_mov_b32 v24, 0 :: v_dual_lshlrev_b32 v11, 2, v1
	v_mad_u64_u32 v[13:14], null, v9, s22, v[12:13]
	s_add_i32 s0, s22, 15
	v_cmp_gt_u32_e64 s2, 0x380, v0
	s_lshr_b32 s29, s0, 4
	v_cmp_gt_u32_e64 s0, 0x400, v0
	v_cmp_gt_u32_e64 s4, 0x300, v0
	;; [unrolled: 1-line block ×7, first 2 shown]
	v_lshrrev_b32_e32 v48, 5, v3
	v_lshl_or_b32 v0, v46, 7, v11
	v_lshrrev_b32_e32 v49, 5, v6
	v_lshrrev_b32_e32 v50, 5, v10
	v_mad_u64_u32 v[14:15], null, v16, s22, v[12:13]
	v_cmp_gt_i32_e64 s11, s20, v16
	v_mad_u64_u32 v[15:16], null, v17, s22, v[12:13]
	v_cmp_gt_i32_e64 s9, s20, v17
	;; [unrolled: 2-line block ×3, first 2 shown]
	v_mad_u64_u32 v[17:18], null, v7, s22, v[12:13]
	v_lshl_or_b32 v3, v48, 7, v11
	v_dual_mov_b32 v22, 0 :: v_dual_add_nc_u32 v51, 0x1400, v0
	v_lshl_or_b32 v0, v49, 7, v11
	v_lshl_or_b32 v4, v50, 7, v11
	v_mad_u64_u32 v[18:19], null, v2, s22, v[12:13]
	v_mad_u64_u32 v[19:20], null, v8, s22, v[12:13]
	v_mul_lo_u32 v55, 0x50, v31
	v_mul_lo_u32 v57, s21, v46
	;; [unrolled: 1-line block ×5, first 2 shown]
	v_mad_u64_u32 v[20:21], null, v5, s22, v[12:13]
	v_cmp_gt_i32_e32 vcc_lo, s20, v5
	v_cmp_gt_i32_e64 s1, s20, v8
	v_cmp_gt_i32_e64 s3, s20, v2
	;; [unrolled: 1-line block ×4, first 2 shown]
	v_add_nc_u32_e32 v52, 0x1400, v3
	v_add_nc_u32_e32 v53, 0x1400, v0
	;; [unrolled: 1-line block ×3, first 2 shown]
	v_lshl_or_b32 v56, v32, 2, 0x1400
	v_dual_mov_b32 v21, 0 :: v_dual_add_nc_u32 v58, s23, v1
	s_and_b32 s16, s15, s8
	s_and_b32 s33, s15, s10
	;; [unrolled: 1-line block ×4, first 2 shown]
	s_lshl_b32 s30, s21, 4
	s_xor_b32 s31, s16, -1
	s_xor_b32 s33, s33, -1
	s_xor_b32 s34, s34, -1
	s_xor_b32 s35, s15, -1
	s_branch .LBB2_3
.LBB2_2:                                ;   in Loop: Header=BB2_3 Depth=1
	s_or_b32 exec_lo, exec_lo, s16
	s_waitcnt lgkmcnt(0)
	s_barrier
	buffer_gl0_inv
	ds_load_b128 v[63:66], v55
	ds_load_b128 v[8:11], v55 offset:16
	ds_load_b128 v[4:7], v55 offset:32
	;; [unrolled: 1-line block ×6, first 2 shown]
	ds_load_b128 v[79:82], v56
	v_add_nc_u32_e32 v58, s30, v58
	s_add_i32 s29, s29, -1
	s_add_i32 s28, s28, 16
	s_cmp_eq_u32 s29, 0
	s_waitcnt lgkmcnt(0)
	v_fmac_f32_e32 v35, v63, v82
	v_fmac_f32_e32 v42, v63, v79
	v_fmac_f32_e32 v33, v67, v80
	v_fmac_f32_e32 v36, v63, v81
	v_fmac_f32_e32 v29, v67, v82
	v_fmac_f32_e32 v40, v63, v80
	v_fmac_f32_e32 v27, v71, v80
	v_fmac_f32_e32 v34, v67, v79
	v_fmac_f32_e32 v25, v71, v82
	v_fmac_f32_e32 v30, v67, v81
	v_fmac_f32_e32 v24, v75, v79
	v_fmac_f32_e32 v23, v75, v80
	v_fmac_f32_e32 v28, v71, v79
	v_fmac_f32_e32 v22, v75, v81
	v_fmac_f32_e32 v21, v75, v82
	v_fmac_f32_e32 v26, v71, v81
	ds_load_b128 v[79:82], v56 offset:128
	s_waitcnt lgkmcnt(0)
	v_fmac_f32_e32 v21, v76, v82
	v_fmac_f32_e32 v35, v64, v82
	v_fmac_f32_e32 v42, v64, v79
	v_fmac_f32_e32 v33, v68, v80
	v_fmac_f32_e32 v36, v64, v81
	v_fmac_f32_e32 v29, v68, v82
	v_fmac_f32_e32 v40, v64, v80
	v_fmac_f32_e32 v27, v72, v80
	v_fmac_f32_e32 v34, v68, v79
	v_fmac_f32_e32 v26, v72, v81
	v_fmac_f32_e32 v25, v72, v82
	v_fmac_f32_e32 v30, v68, v81
	v_fmac_f32_e32 v24, v76, v79
	v_fmac_f32_e32 v23, v76, v80
	v_fmac_f32_e32 v28, v72, v79
	v_fmac_f32_e32 v22, v76, v81
	ds_load_b128 v[79:82], v56 offset:256
	;; [unrolled: 18-line block ×4, first 2 shown]
	ds_load_b128 v[67:70], v55 offset:176
	ds_load_b128 v[71:74], v55 offset:256
	;; [unrolled: 1-line block ×3, first 2 shown]
	s_waitcnt lgkmcnt(0)
	v_fmac_f32_e32 v42, v8, v75
	v_fmac_f32_e32 v40, v8, v76
	v_fmac_f32_e32 v36, v8, v77
	v_fmac_f32_e32 v35, v8, v78
	v_fmac_f32_e32 v33, v63, v76
	v_fmac_f32_e32 v29, v63, v78
	v_fmac_f32_e32 v34, v63, v75
	v_fmac_f32_e32 v27, v67, v76
	v_fmac_f32_e32 v30, v63, v77
	v_fmac_f32_e32 v25, v67, v78
	v_fmac_f32_e32 v28, v67, v75
	v_fmac_f32_e32 v23, v71, v76
	v_fmac_f32_e32 v26, v67, v77
	v_fmac_f32_e32 v21, v71, v78
	v_fmac_f32_e32 v24, v71, v75
	v_fmac_f32_e32 v22, v71, v77
	ds_load_b128 v[75:78], v56 offset:640
	s_waitcnt lgkmcnt(0)
	v_dual_fmac_f32 v21, v72, v78 :: v_dual_fmac_f32 v42, v9, v75
	v_fmac_f32_e32 v40, v9, v76
	v_fmac_f32_e32 v36, v9, v77
	;; [unrolled: 1-line block ×14, first 2 shown]
	ds_load_b128 v[75:78], v56 offset:768
	s_waitcnt lgkmcnt(0)
	v_fmac_f32_e32 v42, v10, v75
	v_fmac_f32_e32 v40, v10, v76
	;; [unrolled: 1-line block ×16, first 2 shown]
	ds_load_b128 v[75:78], v56 offset:896
	s_waitcnt lgkmcnt(0)
	v_fmac_f32_e32 v42, v11, v75
	v_fmac_f32_e32 v40, v11, v76
	;; [unrolled: 1-line block ×16, first 2 shown]
	ds_load_b128 v[8:11], v55 offset:112
	ds_load_b128 v[63:66], v55 offset:192
	;; [unrolled: 1-line block ×4, first 2 shown]
	s_waitcnt lgkmcnt(0)
	v_fmac_f32_e32 v42, v4, v71
	v_fmac_f32_e32 v40, v4, v72
	v_fmac_f32_e32 v36, v4, v73
	v_fmac_f32_e32 v35, v4, v74
	v_fmac_f32_e32 v34, v8, v71
	v_fmac_f32_e32 v33, v8, v72
	v_fmac_f32_e32 v30, v8, v73
	v_dual_fmac_f32 v29, v8, v74 :: v_dual_fmac_f32 v28, v63, v71
	v_fmac_f32_e32 v27, v63, v72
	v_fmac_f32_e32 v26, v63, v73
	v_fmac_f32_e32 v25, v63, v74
	v_fmac_f32_e32 v24, v67, v71
	v_fmac_f32_e32 v23, v67, v72
	v_fmac_f32_e32 v22, v67, v73
	v_fmac_f32_e32 v21, v67, v74
	ds_load_b128 v[71:74], v56 offset:1152
	s_waitcnt lgkmcnt(0)
	v_fmac_f32_e32 v42, v5, v71
	v_fmac_f32_e32 v40, v5, v72
	v_fmac_f32_e32 v36, v5, v73
	v_fmac_f32_e32 v35, v5, v74
	v_fmac_f32_e32 v34, v9, v71
	v_fmac_f32_e32 v33, v9, v72
	v_fmac_f32_e32 v30, v9, v73
	v_dual_fmac_f32 v29, v9, v74 :: v_dual_fmac_f32 v28, v64, v71
	v_fmac_f32_e32 v27, v64, v72
	v_fmac_f32_e32 v26, v64, v73
	v_fmac_f32_e32 v25, v64, v74
	v_fmac_f32_e32 v24, v68, v71
	v_fmac_f32_e32 v23, v68, v72
	v_fmac_f32_e32 v22, v68, v73
	v_fmac_f32_e32 v21, v68, v74
	ds_load_b128 v[71:74], v56 offset:1280
	;; [unrolled: 17-line block ×4, first 2 shown]
	ds_load_b128 v[8:11], v55 offset:208
	ds_load_b128 v[63:66], v55 offset:288
	;; [unrolled: 1-line block ×3, first 2 shown]
	s_waitcnt lgkmcnt(0)
	v_fmac_f32_e32 v42, v0, v67
	v_fmac_f32_e32 v40, v0, v68
	v_fmac_f32_e32 v36, v0, v69
	v_fmac_f32_e32 v35, v0, v70
	v_fmac_f32_e32 v34, v4, v67
	v_fmac_f32_e32 v33, v4, v68
	v_fmac_f32_e32 v30, v4, v69
	v_fmac_f32_e32 v29, v4, v70
	v_fmac_f32_e32 v28, v8, v67
	v_fmac_f32_e32 v27, v8, v68
	v_fmac_f32_e32 v26, v8, v69
	v_dual_fmac_f32 v25, v8, v70 :: v_dual_fmac_f32 v24, v63, v67
	v_fmac_f32_e32 v23, v63, v68
	v_fmac_f32_e32 v22, v63, v69
	v_fmac_f32_e32 v21, v63, v70
	ds_load_b128 v[67:70], v56 offset:1664
	s_waitcnt lgkmcnt(0)
	v_fmac_f32_e32 v42, v1, v67
	v_fmac_f32_e32 v40, v1, v68
	v_fmac_f32_e32 v36, v1, v69
	v_fmac_f32_e32 v35, v1, v70
	v_fmac_f32_e32 v34, v5, v67
	v_fmac_f32_e32 v33, v5, v68
	v_fmac_f32_e32 v30, v5, v69
	v_fmac_f32_e32 v29, v5, v70
	v_fmac_f32_e32 v28, v9, v67
	v_fmac_f32_e32 v27, v9, v68
	v_fmac_f32_e32 v26, v9, v69
	v_dual_fmac_f32 v25, v9, v70 :: v_dual_fmac_f32 v24, v64, v67
	v_fmac_f32_e32 v23, v64, v68
	v_fmac_f32_e32 v22, v64, v69
	v_fmac_f32_e32 v21, v64, v70
	ds_load_b128 v[67:70], v56 offset:1792
	;; [unrolled: 17-line block ×3, first 2 shown]
	s_waitcnt lgkmcnt(0)
	s_barrier
	buffer_gl0_inv
	v_dual_fmac_f32 v21, v66, v70 :: v_dual_fmac_f32 v42, v3, v67
	v_fmac_f32_e32 v40, v3, v68
	v_fmac_f32_e32 v36, v3, v69
	;; [unrolled: 1-line block ×10, first 2 shown]
	v_dual_fmac_f32 v25, v11, v70 :: v_dual_fmac_f32 v24, v66, v67
	v_fmac_f32_e32 v23, v66, v68
	v_fmac_f32_e32 v22, v66, v69
	s_cbranch_scc1 .LBB2_75
.LBB2_3:                                ; =>This Inner Loop Header: Depth=1
	v_add_nc_u32_e32 v0, s28, v12
	s_delay_alu instid0(VALU_DEP_1) | instskip(NEXT) | instid1(VALU_DEP_1)
	v_cmp_gt_i32_e64 s15, s22, v0
	s_and_b32 s16, s15, s0
	s_delay_alu instid0(SALU_CYCLE_1) | instskip(NEXT) | instid1(SALU_CYCLE_1)
	s_and_b32 s16, vcc_lo, s16
	s_xor_b32 s16, s16, -1
	s_delay_alu instid0(SALU_CYCLE_1) | instskip(NEXT) | instid1(SALU_CYCLE_1)
	s_and_saveexec_b32 s36, s16
	s_xor_b32 s16, exec_lo, s36
	s_cbranch_execz .LBB2_7
; %bb.4:                                ;   in Loop: Header=BB2_3 Depth=1
	s_and_saveexec_b32 s36, s0
	s_cbranch_execz .LBB2_6
; %bb.5:                                ;   in Loop: Header=BB2_3 Depth=1
	ds_store_b32 v37, v62
.LBB2_6:                                ;   in Loop: Header=BB2_3 Depth=1
	s_or_b32 exec_lo, exec_lo, s36
.LBB2_7:                                ;   in Loop: Header=BB2_3 Depth=1
	s_and_not1_saveexec_b32 s36, s16
	s_cbranch_execz .LBB2_9
; %bb.8:                                ;   in Loop: Header=BB2_3 Depth=1
	v_add_nc_u32_e32 v0, s28, v20
	s_delay_alu instid0(VALU_DEP_1) | instskip(NEXT) | instid1(VALU_DEP_1)
	v_ashrrev_i32_e32 v1, 31, v0
	v_lshlrev_b64 v[0:1], 2, v[0:1]
	s_delay_alu instid0(VALU_DEP_1) | instskip(NEXT) | instid1(VALU_DEP_1)
	v_add_co_u32 v0, s16, s24, v0
	v_add_co_ci_u32_e64 v1, s16, s25, v1, s16
	global_load_b32 v0, v[0:1], off
	s_waitcnt vmcnt(0)
	ds_store_b32 v37, v0
.LBB2_9:                                ;   in Loop: Header=BB2_3 Depth=1
	s_or_b32 exec_lo, exec_lo, s36
	s_and_b32 s16, s15, s2
	s_delay_alu instid0(SALU_CYCLE_1) | instskip(NEXT) | instid1(SALU_CYCLE_1)
	s_and_b32 s16, s1, s16
	s_xor_b32 s16, s16, -1
	s_delay_alu instid0(SALU_CYCLE_1) | instskip(NEXT) | instid1(SALU_CYCLE_1)
	s_and_saveexec_b32 s36, s16
	s_xor_b32 s16, exec_lo, s36
	s_cbranch_execz .LBB2_13
; %bb.10:                               ;   in Loop: Header=BB2_3 Depth=1
	s_and_saveexec_b32 s36, s2
	s_cbranch_execz .LBB2_12
; %bb.11:                               ;   in Loop: Header=BB2_3 Depth=1
	ds_store_b32 v38, v62
.LBB2_12:                               ;   in Loop: Header=BB2_3 Depth=1
	s_or_b32 exec_lo, exec_lo, s36
.LBB2_13:                               ;   in Loop: Header=BB2_3 Depth=1
	s_and_not1_saveexec_b32 s36, s16
	s_cbranch_execz .LBB2_15
; %bb.14:                               ;   in Loop: Header=BB2_3 Depth=1
	v_add_nc_u32_e32 v0, s28, v19
	s_delay_alu instid0(VALU_DEP_1) | instskip(NEXT) | instid1(VALU_DEP_1)
	v_ashrrev_i32_e32 v1, 31, v0
	v_lshlrev_b64 v[0:1], 2, v[0:1]
	s_delay_alu instid0(VALU_DEP_1) | instskip(NEXT) | instid1(VALU_DEP_1)
	v_add_co_u32 v0, s16, s24, v0
	v_add_co_ci_u32_e64 v1, s16, s25, v1, s16
	global_load_b32 v0, v[0:1], off
	s_waitcnt vmcnt(0)
	ds_store_b32 v38, v0
.LBB2_15:                               ;   in Loop: Header=BB2_3 Depth=1
	s_or_b32 exec_lo, exec_lo, s36
	s_and_b32 s16, s15, s4
	s_delay_alu instid0(SALU_CYCLE_1) | instskip(NEXT) | instid1(SALU_CYCLE_1)
	s_and_b32 s16, s3, s16
	s_xor_b32 s16, s16, -1
	s_delay_alu instid0(SALU_CYCLE_1) | instskip(NEXT) | instid1(SALU_CYCLE_1)
	s_and_saveexec_b32 s36, s16
	s_xor_b32 s16, exec_lo, s36
	s_cbranch_execz .LBB2_19
; %bb.16:                               ;   in Loop: Header=BB2_3 Depth=1
	s_and_saveexec_b32 s36, s4
	s_cbranch_execz .LBB2_18
; %bb.17:                               ;   in Loop: Header=BB2_3 Depth=1
	ds_store_b32 v39, v62
.LBB2_18:                               ;   in Loop: Header=BB2_3 Depth=1
	s_or_b32 exec_lo, exec_lo, s36
.LBB2_19:                               ;   in Loop: Header=BB2_3 Depth=1
	s_and_not1_saveexec_b32 s36, s16
	s_cbranch_execz .LBB2_21
; %bb.20:                               ;   in Loop: Header=BB2_3 Depth=1
	v_add_nc_u32_e32 v0, s28, v18
	s_delay_alu instid0(VALU_DEP_1) | instskip(NEXT) | instid1(VALU_DEP_1)
	v_ashrrev_i32_e32 v1, 31, v0
	v_lshlrev_b64 v[0:1], 2, v[0:1]
	s_delay_alu instid0(VALU_DEP_1) | instskip(NEXT) | instid1(VALU_DEP_1)
	v_add_co_u32 v0, s16, s24, v0
	v_add_co_ci_u32_e64 v1, s16, s25, v1, s16
	global_load_b32 v0, v[0:1], off
	s_waitcnt vmcnt(0)
	ds_store_b32 v39, v0
.LBB2_21:                               ;   in Loop: Header=BB2_3 Depth=1
	;; [unrolled: 31-line block ×7, first 2 shown]
	s_or_b32 exec_lo, exec_lo, s16
	v_add_nc_u32_e32 v0, s28, v46
	s_delay_alu instid0(VALU_DEP_1) | instskip(NEXT) | instid1(VALU_DEP_1)
	v_cmp_le_i32_e64 s15, s22, v0
	s_or_b32 s15, s15, s31
	s_delay_alu instid0(SALU_CYCLE_1) | instskip(NEXT) | instid1(SALU_CYCLE_1)
	s_and_saveexec_b32 s16, s15
	s_xor_b32 s15, exec_lo, s16
	s_cbranch_execz .LBB2_55
; %bb.52:                               ;   in Loop: Header=BB2_3 Depth=1
	s_and_saveexec_b32 s16, s8
	s_cbranch_execz .LBB2_54
; %bb.53:                               ;   in Loop: Header=BB2_3 Depth=1
	ds_store_b32 v51, v62
.LBB2_54:                               ;   in Loop: Header=BB2_3 Depth=1
	s_or_b32 exec_lo, exec_lo, s16
.LBB2_55:                               ;   in Loop: Header=BB2_3 Depth=1
	s_and_not1_saveexec_b32 s16, s15
	s_cbranch_execz .LBB2_57
; %bb.56:                               ;   in Loop: Header=BB2_3 Depth=1
	v_add_nc_u32_e32 v0, v57, v58
	s_delay_alu instid0(VALU_DEP_1) | instskip(NEXT) | instid1(VALU_DEP_1)
	v_ashrrev_i32_e32 v1, 31, v0
	v_lshlrev_b64 v[0:1], 2, v[0:1]
	s_delay_alu instid0(VALU_DEP_1) | instskip(NEXT) | instid1(VALU_DEP_1)
	v_add_co_u32 v0, s15, s26, v0
	v_add_co_ci_u32_e64 v1, s15, s27, v1, s15
	global_load_b32 v0, v[0:1], off
	s_waitcnt vmcnt(0)
	ds_store_b32 v51, v0
.LBB2_57:                               ;   in Loop: Header=BB2_3 Depth=1
	s_or_b32 exec_lo, exec_lo, s16
	v_add_nc_u32_e32 v0, s28, v48
	s_delay_alu instid0(VALU_DEP_1) | instskip(NEXT) | instid1(VALU_DEP_1)
	v_cmp_le_i32_e64 s15, s22, v0
	s_or_b32 s15, s15, s33
	s_delay_alu instid0(SALU_CYCLE_1) | instskip(NEXT) | instid1(SALU_CYCLE_1)
	s_and_saveexec_b32 s16, s15
	s_xor_b32 s15, exec_lo, s16
	s_cbranch_execz .LBB2_61
; %bb.58:                               ;   in Loop: Header=BB2_3 Depth=1
	s_and_saveexec_b32 s16, s10
	s_cbranch_execz .LBB2_60
; %bb.59:                               ;   in Loop: Header=BB2_3 Depth=1
	ds_store_b32 v52, v62
.LBB2_60:                               ;   in Loop: Header=BB2_3 Depth=1
	s_or_b32 exec_lo, exec_lo, s16
.LBB2_61:                               ;   in Loop: Header=BB2_3 Depth=1
	s_and_not1_saveexec_b32 s16, s15
	s_cbranch_execz .LBB2_63
; %bb.62:                               ;   in Loop: Header=BB2_3 Depth=1
	v_add_nc_u32_e32 v0, v59, v58
	s_delay_alu instid0(VALU_DEP_1) | instskip(NEXT) | instid1(VALU_DEP_1)
	v_ashrrev_i32_e32 v1, 31, v0
	v_lshlrev_b64 v[0:1], 2, v[0:1]
	s_delay_alu instid0(VALU_DEP_1) | instskip(NEXT) | instid1(VALU_DEP_1)
	v_add_co_u32 v0, s15, s26, v0
	v_add_co_ci_u32_e64 v1, s15, s27, v1, s15
	global_load_b32 v0, v[0:1], off
	s_waitcnt vmcnt(0)
	ds_store_b32 v52, v0
.LBB2_63:                               ;   in Loop: Header=BB2_3 Depth=1
	;; [unrolled: 31-line block ×3, first 2 shown]
	s_or_b32 exec_lo, exec_lo, s16
	v_add_nc_u32_e32 v0, s28, v50
	s_delay_alu instid0(VALU_DEP_1) | instskip(NEXT) | instid1(VALU_DEP_1)
	v_cmp_le_i32_e64 s15, s22, v0
	s_or_b32 s15, s15, s35
	s_delay_alu instid0(SALU_CYCLE_1) | instskip(NEXT) | instid1(SALU_CYCLE_1)
	s_and_saveexec_b32 s16, s15
	s_xor_b32 s15, exec_lo, s16
	s_cbranch_execz .LBB2_73
; %bb.70:                               ;   in Loop: Header=BB2_3 Depth=1
	s_and_saveexec_b32 s16, s14
	s_cbranch_execz .LBB2_72
; %bb.71:                               ;   in Loop: Header=BB2_3 Depth=1
	ds_store_b32 v54, v62
.LBB2_72:                               ;   in Loop: Header=BB2_3 Depth=1
	s_or_b32 exec_lo, exec_lo, s16
.LBB2_73:                               ;   in Loop: Header=BB2_3 Depth=1
	s_and_not1_saveexec_b32 s16, s15
	s_cbranch_execz .LBB2_2
; %bb.74:                               ;   in Loop: Header=BB2_3 Depth=1
	v_add_nc_u32_e32 v0, v61, v58
	s_delay_alu instid0(VALU_DEP_1) | instskip(NEXT) | instid1(VALU_DEP_1)
	v_ashrrev_i32_e32 v1, 31, v0
	v_lshlrev_b64 v[0:1], 2, v[0:1]
	s_delay_alu instid0(VALU_DEP_1) | instskip(NEXT) | instid1(VALU_DEP_1)
	v_add_co_u32 v0, s15, s26, v0
	v_add_co_ci_u32_e64 v1, s15, s27, v1, s15
	global_load_b32 v0, v[0:1], off
	s_waitcnt vmcnt(0)
	ds_store_b32 v54, v0
	s_branch .LBB2_2
.LBB2_75:
	s_delay_alu instid0(VALU_DEP_2) | instskip(NEXT) | instid1(VALU_DEP_2)
	v_add_nc_u32_e32 v1, s17, v31
	v_or_b32_e32 v0, s23, v32
	s_delay_alu instid0(VALU_DEP_2) | instskip(SKIP_1) | instid1(VALU_DEP_3)
	v_mul_lo_u32 v2, v1, s21
	v_cmp_gt_i32_e64 s3, s20, v1
	v_cmp_gt_i32_e32 vcc_lo, s21, v0
	s_delay_alu instid0(VALU_DEP_2) | instskip(NEXT) | instid1(SALU_CYCLE_1)
	s_and_b32 s0, s3, vcc_lo
	s_and_saveexec_b32 s1, s0
	s_cbranch_execz .LBB2_77
; %bb.76:
	s_delay_alu instid0(VALU_DEP_3) | instskip(NEXT) | instid1(VALU_DEP_1)
	v_add_nc_u32_e32 v3, v0, v2
	v_ashrrev_i32_e32 v4, 31, v3
	s_delay_alu instid0(VALU_DEP_1) | instskip(NEXT) | instid1(VALU_DEP_1)
	v_lshlrev_b64 v[3:4], 2, v[3:4]
	v_add_co_u32 v3, s0, s18, v3
	s_delay_alu instid0(VALU_DEP_1)
	v_add_co_ci_u32_e64 v4, s0, s19, v4, s0
	global_store_b32 v[3:4], v42, off
.LBB2_77:
	s_or_b32 exec_lo, exec_lo, s1
	v_or_b32_e32 v3, 1, v0
	s_delay_alu instid0(VALU_DEP_1) | instskip(NEXT) | instid1(VALU_DEP_1)
	v_cmp_gt_i32_e64 s0, s21, v3
	s_and_b32 s1, s3, s0
	s_delay_alu instid0(SALU_CYCLE_1)
	s_and_saveexec_b32 s2, s1
	s_cbranch_execz .LBB2_79
; %bb.78:
	v_ashrrev_i32_e32 v4, 31, v2
	v_ashrrev_i32_e32 v5, 31, v0
	v_add_co_u32 v3, s1, v0, v2
	s_delay_alu instid0(VALU_DEP_1) | instskip(NEXT) | instid1(VALU_DEP_1)
	v_add_co_ci_u32_e64 v4, s1, v5, v4, s1
	v_lshlrev_b64 v[3:4], 2, v[3:4]
	s_delay_alu instid0(VALU_DEP_1) | instskip(NEXT) | instid1(VALU_DEP_1)
	v_add_co_u32 v3, s1, s18, v3
	v_add_co_ci_u32_e64 v4, s1, s19, v4, s1
	global_store_b32 v[3:4], v40, off offset:4
.LBB2_79:
	s_or_b32 exec_lo, exec_lo, s2
	v_or_b32_e32 v3, 2, v0
	s_delay_alu instid0(VALU_DEP_1) | instskip(NEXT) | instid1(VALU_DEP_1)
	v_cmp_gt_i32_e64 s1, s21, v3
	s_and_b32 s2, s3, s1
	s_delay_alu instid0(SALU_CYCLE_1)
	s_and_saveexec_b32 s4, s2
	s_cbranch_execz .LBB2_81
; %bb.80:
	v_ashrrev_i32_e32 v4, 31, v2
	v_ashrrev_i32_e32 v5, 31, v0
	v_add_co_u32 v3, s2, v0, v2
	s_delay_alu instid0(VALU_DEP_1) | instskip(NEXT) | instid1(VALU_DEP_1)
	v_add_co_ci_u32_e64 v4, s2, v5, v4, s2
	v_lshlrev_b64 v[3:4], 2, v[3:4]
	s_delay_alu instid0(VALU_DEP_1) | instskip(NEXT) | instid1(VALU_DEP_1)
	v_add_co_u32 v3, s2, s18, v3
	v_add_co_ci_u32_e64 v4, s2, s19, v4, s2
	global_store_b32 v[3:4], v36, off offset:8
.LBB2_81:
	;; [unrolled: 20-line block ×3, first 2 shown]
	s_or_b32 exec_lo, exec_lo, s4
	v_or_b32_e32 v3, 1, v1
	v_add_nc_u32_e32 v2, s21, v2
	s_delay_alu instid0(VALU_DEP_2) | instskip(NEXT) | instid1(VALU_DEP_1)
	v_cmp_gt_i32_e64 s3, s20, v3
	s_and_b32 s4, s3, vcc_lo
	s_delay_alu instid0(SALU_CYCLE_1)
	s_and_saveexec_b32 s5, s4
	s_cbranch_execnz .LBB2_98
; %bb.84:
	s_or_b32 exec_lo, exec_lo, s5
	s_and_b32 s4, s3, s0
	s_delay_alu instid0(SALU_CYCLE_1)
	s_and_saveexec_b32 s5, s4
	s_cbranch_execnz .LBB2_99
.LBB2_85:
	s_or_b32 exec_lo, exec_lo, s5
	s_and_b32 s4, s3, s1
	s_delay_alu instid0(SALU_CYCLE_1)
	s_and_saveexec_b32 s5, s4
	s_cbranch_execnz .LBB2_100
.LBB2_86:
	s_or_b32 exec_lo, exec_lo, s5
	s_and_b32 s3, s3, s2
	s_delay_alu instid0(SALU_CYCLE_1)
	s_and_saveexec_b32 s4, s3
	s_cbranch_execz .LBB2_88
.LBB2_87:
	v_ashrrev_i32_e32 v4, 31, v2
	v_ashrrev_i32_e32 v5, 31, v0
	v_add_co_u32 v3, s3, v0, v2
	s_delay_alu instid0(VALU_DEP_1) | instskip(NEXT) | instid1(VALU_DEP_1)
	v_add_co_ci_u32_e64 v4, s3, v5, v4, s3
	v_lshlrev_b64 v[3:4], 2, v[3:4]
	s_delay_alu instid0(VALU_DEP_1) | instskip(NEXT) | instid1(VALU_DEP_1)
	v_add_co_u32 v3, s3, s18, v3
	v_add_co_ci_u32_e64 v4, s3, s19, v4, s3
	global_store_b32 v[3:4], v29, off offset:12
.LBB2_88:
	s_or_b32 exec_lo, exec_lo, s4
	v_or_b32_e32 v3, 2, v1
	v_add_nc_u32_e32 v2, s21, v2
	s_delay_alu instid0(VALU_DEP_2) | instskip(NEXT) | instid1(VALU_DEP_1)
	v_cmp_gt_i32_e64 s3, s20, v3
	s_and_b32 s4, s3, vcc_lo
	s_delay_alu instid0(SALU_CYCLE_1)
	s_and_saveexec_b32 s5, s4
	s_cbranch_execnz .LBB2_101
; %bb.89:
	s_or_b32 exec_lo, exec_lo, s5
	s_and_b32 s4, s3, s0
	s_delay_alu instid0(SALU_CYCLE_1)
	s_and_saveexec_b32 s5, s4
	s_cbranch_execnz .LBB2_102
.LBB2_90:
	s_or_b32 exec_lo, exec_lo, s5
	s_and_b32 s4, s3, s1
	s_delay_alu instid0(SALU_CYCLE_1)
	s_and_saveexec_b32 s5, s4
	s_cbranch_execnz .LBB2_103
.LBB2_91:
	s_or_b32 exec_lo, exec_lo, s5
	s_and_b32 s3, s3, s2
	s_delay_alu instid0(SALU_CYCLE_1)
	s_and_saveexec_b32 s4, s3
	s_cbranch_execz .LBB2_93
.LBB2_92:
	v_ashrrev_i32_e32 v4, 31, v2
	v_ashrrev_i32_e32 v5, 31, v0
	v_add_co_u32 v3, s3, v0, v2
	s_delay_alu instid0(VALU_DEP_1) | instskip(NEXT) | instid1(VALU_DEP_1)
	v_add_co_ci_u32_e64 v4, s3, v5, v4, s3
	v_lshlrev_b64 v[3:4], 2, v[3:4]
	s_delay_alu instid0(VALU_DEP_1) | instskip(NEXT) | instid1(VALU_DEP_1)
	v_add_co_u32 v3, s3, s18, v3
	v_add_co_ci_u32_e64 v4, s3, s19, v4, s3
	global_store_b32 v[3:4], v25, off offset:12
.LBB2_93:
	s_or_b32 exec_lo, exec_lo, s4
	v_or_b32_e32 v1, 3, v1
	s_delay_alu instid0(VALU_DEP_1) | instskip(SKIP_1) | instid1(VALU_DEP_2)
	v_cmp_gt_i32_e64 s3, s20, v1
	v_add_nc_u32_e32 v1, s21, v2
	s_and_b32 s5, s3, vcc_lo
	s_delay_alu instid0(SALU_CYCLE_1)
	s_and_saveexec_b32 s4, s5
	s_cbranch_execnz .LBB2_104
; %bb.94:
	s_or_b32 exec_lo, exec_lo, s4
	s_and_b32 s4, s3, s0
	s_delay_alu instid0(SALU_CYCLE_1)
	s_and_saveexec_b32 s0, s4
	s_cbranch_execnz .LBB2_105
.LBB2_95:
	s_or_b32 exec_lo, exec_lo, s0
	s_and_b32 s1, s3, s1
	s_delay_alu instid0(SALU_CYCLE_1)
	s_and_saveexec_b32 s0, s1
	s_cbranch_execnz .LBB2_106
.LBB2_96:
	s_or_b32 exec_lo, exec_lo, s0
	s_and_b32 s0, s3, s2
	s_delay_alu instid0(SALU_CYCLE_1)
	s_and_saveexec_b32 s1, s0
	s_cbranch_execnz .LBB2_107
.LBB2_97:
	s_nop 0
	s_sendmsg sendmsg(MSG_DEALLOC_VGPRS)
	s_endpgm
.LBB2_98:
	v_add_nc_u32_e32 v3, v0, v2
	s_delay_alu instid0(VALU_DEP_1) | instskip(NEXT) | instid1(VALU_DEP_1)
	v_ashrrev_i32_e32 v4, 31, v3
	v_lshlrev_b64 v[3:4], 2, v[3:4]
	s_delay_alu instid0(VALU_DEP_1) | instskip(NEXT) | instid1(VALU_DEP_1)
	v_add_co_u32 v3, s4, s18, v3
	v_add_co_ci_u32_e64 v4, s4, s19, v4, s4
	global_store_b32 v[3:4], v34, off
	s_or_b32 exec_lo, exec_lo, s5
	s_and_b32 s4, s3, s0
	s_delay_alu instid0(SALU_CYCLE_1)
	s_and_saveexec_b32 s5, s4
	s_cbranch_execz .LBB2_85
.LBB2_99:
	v_ashrrev_i32_e32 v4, 31, v2
	v_ashrrev_i32_e32 v5, 31, v0
	v_add_co_u32 v3, s4, v0, v2
	s_delay_alu instid0(VALU_DEP_1) | instskip(NEXT) | instid1(VALU_DEP_1)
	v_add_co_ci_u32_e64 v4, s4, v5, v4, s4
	v_lshlrev_b64 v[3:4], 2, v[3:4]
	s_delay_alu instid0(VALU_DEP_1) | instskip(NEXT) | instid1(VALU_DEP_1)
	v_add_co_u32 v3, s4, s18, v3
	v_add_co_ci_u32_e64 v4, s4, s19, v4, s4
	global_store_b32 v[3:4], v33, off offset:4
	s_or_b32 exec_lo, exec_lo, s5
	s_and_b32 s4, s3, s1
	s_delay_alu instid0(SALU_CYCLE_1)
	s_and_saveexec_b32 s5, s4
	s_cbranch_execz .LBB2_86
.LBB2_100:
	v_ashrrev_i32_e32 v4, 31, v2
	v_ashrrev_i32_e32 v5, 31, v0
	v_add_co_u32 v3, s4, v0, v2
	s_delay_alu instid0(VALU_DEP_1) | instskip(NEXT) | instid1(VALU_DEP_1)
	v_add_co_ci_u32_e64 v4, s4, v5, v4, s4
	v_lshlrev_b64 v[3:4], 2, v[3:4]
	s_delay_alu instid0(VALU_DEP_1) | instskip(NEXT) | instid1(VALU_DEP_1)
	v_add_co_u32 v3, s4, s18, v3
	v_add_co_ci_u32_e64 v4, s4, s19, v4, s4
	global_store_b32 v[3:4], v30, off offset:8
	s_or_b32 exec_lo, exec_lo, s5
	s_and_b32 s3, s3, s2
	s_delay_alu instid0(SALU_CYCLE_1)
	s_and_saveexec_b32 s4, s3
	s_cbranch_execnz .LBB2_87
	s_branch .LBB2_88
.LBB2_101:
	v_add_nc_u32_e32 v3, v0, v2
	s_delay_alu instid0(VALU_DEP_1) | instskip(NEXT) | instid1(VALU_DEP_1)
	v_ashrrev_i32_e32 v4, 31, v3
	v_lshlrev_b64 v[3:4], 2, v[3:4]
	s_delay_alu instid0(VALU_DEP_1) | instskip(NEXT) | instid1(VALU_DEP_1)
	v_add_co_u32 v3, s4, s18, v3
	v_add_co_ci_u32_e64 v4, s4, s19, v4, s4
	global_store_b32 v[3:4], v28, off
	s_or_b32 exec_lo, exec_lo, s5
	s_and_b32 s4, s3, s0
	s_delay_alu instid0(SALU_CYCLE_1)
	s_and_saveexec_b32 s5, s4
	s_cbranch_execz .LBB2_90
.LBB2_102:
	v_ashrrev_i32_e32 v4, 31, v2
	v_ashrrev_i32_e32 v5, 31, v0
	v_add_co_u32 v3, s4, v0, v2
	s_delay_alu instid0(VALU_DEP_1) | instskip(NEXT) | instid1(VALU_DEP_1)
	v_add_co_ci_u32_e64 v4, s4, v5, v4, s4
	v_lshlrev_b64 v[3:4], 2, v[3:4]
	s_delay_alu instid0(VALU_DEP_1) | instskip(NEXT) | instid1(VALU_DEP_1)
	v_add_co_u32 v3, s4, s18, v3
	v_add_co_ci_u32_e64 v4, s4, s19, v4, s4
	global_store_b32 v[3:4], v27, off offset:4
	s_or_b32 exec_lo, exec_lo, s5
	s_and_b32 s4, s3, s1
	s_delay_alu instid0(SALU_CYCLE_1)
	s_and_saveexec_b32 s5, s4
	s_cbranch_execz .LBB2_91
.LBB2_103:
	v_ashrrev_i32_e32 v4, 31, v2
	v_ashrrev_i32_e32 v5, 31, v0
	v_add_co_u32 v3, s4, v0, v2
	s_delay_alu instid0(VALU_DEP_1) | instskip(NEXT) | instid1(VALU_DEP_1)
	v_add_co_ci_u32_e64 v4, s4, v5, v4, s4
	v_lshlrev_b64 v[3:4], 2, v[3:4]
	s_delay_alu instid0(VALU_DEP_1) | instskip(NEXT) | instid1(VALU_DEP_1)
	v_add_co_u32 v3, s4, s18, v3
	v_add_co_ci_u32_e64 v4, s4, s19, v4, s4
	global_store_b32 v[3:4], v26, off offset:8
	s_or_b32 exec_lo, exec_lo, s5
	s_and_b32 s3, s3, s2
	s_delay_alu instid0(SALU_CYCLE_1)
	s_and_saveexec_b32 s4, s3
	s_cbranch_execnz .LBB2_92
	s_branch .LBB2_93
.LBB2_104:
	s_delay_alu instid0(VALU_DEP_1) | instskip(NEXT) | instid1(VALU_DEP_1)
	v_add_nc_u32_e32 v2, v0, v1
	v_ashrrev_i32_e32 v3, 31, v2
	s_delay_alu instid0(VALU_DEP_1) | instskip(NEXT) | instid1(VALU_DEP_1)
	v_lshlrev_b64 v[2:3], 2, v[2:3]
	v_add_co_u32 v2, vcc_lo, s18, v2
	s_delay_alu instid0(VALU_DEP_2) | instskip(SKIP_3) | instid1(SALU_CYCLE_1)
	v_add_co_ci_u32_e32 v3, vcc_lo, s19, v3, vcc_lo
	global_store_b32 v[2:3], v24, off
	s_or_b32 exec_lo, exec_lo, s4
	s_and_b32 s4, s3, s0
	s_and_saveexec_b32 s0, s4
	s_cbranch_execz .LBB2_95
.LBB2_105:
	v_ashrrev_i32_e32 v3, 31, v1
	v_ashrrev_i32_e32 v4, 31, v0
	v_add_co_u32 v2, vcc_lo, v0, v1
	s_delay_alu instid0(VALU_DEP_2) | instskip(NEXT) | instid1(VALU_DEP_1)
	v_add_co_ci_u32_e32 v3, vcc_lo, v4, v3, vcc_lo
	v_lshlrev_b64 v[2:3], 2, v[2:3]
	s_delay_alu instid0(VALU_DEP_1) | instskip(NEXT) | instid1(VALU_DEP_2)
	v_add_co_u32 v2, vcc_lo, s18, v2
	v_add_co_ci_u32_e32 v3, vcc_lo, s19, v3, vcc_lo
	global_store_b32 v[2:3], v23, off offset:4
	s_or_b32 exec_lo, exec_lo, s0
	s_and_b32 s1, s3, s1
	s_delay_alu instid0(SALU_CYCLE_1)
	s_and_saveexec_b32 s0, s1
	s_cbranch_execz .LBB2_96
.LBB2_106:
	v_ashrrev_i32_e32 v3, 31, v1
	v_ashrrev_i32_e32 v4, 31, v0
	v_add_co_u32 v2, vcc_lo, v0, v1
	s_delay_alu instid0(VALU_DEP_2) | instskip(NEXT) | instid1(VALU_DEP_1)
	v_add_co_ci_u32_e32 v3, vcc_lo, v4, v3, vcc_lo
	v_lshlrev_b64 v[2:3], 2, v[2:3]
	s_delay_alu instid0(VALU_DEP_1) | instskip(NEXT) | instid1(VALU_DEP_2)
	v_add_co_u32 v2, vcc_lo, s18, v2
	v_add_co_ci_u32_e32 v3, vcc_lo, s19, v3, vcc_lo
	global_store_b32 v[2:3], v22, off offset:8
	s_or_b32 exec_lo, exec_lo, s0
	s_and_b32 s0, s3, s2
	s_delay_alu instid0(SALU_CYCLE_1)
	s_and_saveexec_b32 s1, s0
	s_cbranch_execz .LBB2_97
.LBB2_107:
	v_ashrrev_i32_e32 v2, 31, v1
	v_ashrrev_i32_e32 v3, 31, v0
	v_add_co_u32 v0, vcc_lo, v0, v1
	s_delay_alu instid0(VALU_DEP_2) | instskip(NEXT) | instid1(VALU_DEP_1)
	v_add_co_ci_u32_e32 v1, vcc_lo, v3, v2, vcc_lo
	v_lshlrev_b64 v[0:1], 2, v[0:1]
	s_delay_alu instid0(VALU_DEP_1) | instskip(NEXT) | instid1(VALU_DEP_2)
	v_add_co_u32 v0, vcc_lo, s18, v0
	v_add_co_ci_u32_e32 v1, vcc_lo, s19, v1, vcc_lo
	global_store_b32 v[0:1], v21, off offset:12
	s_nop 0
	s_sendmsg sendmsg(MSG_DEALLOC_VGPRS)
	s_endpgm
	.section	.rodata,"a",@progbits
	.p2align	6, 0x0
	.amdhsa_kernel _Z31matrix_multiply_register_tilingPfS_S_iii
		.amdhsa_group_segment_fixed_size 7168
		.amdhsa_private_segment_fixed_size 0
		.amdhsa_kernarg_size 296
		.amdhsa_user_sgpr_count 14
		.amdhsa_user_sgpr_dispatch_ptr 0
		.amdhsa_user_sgpr_queue_ptr 0
		.amdhsa_user_sgpr_kernarg_segment_ptr 1
		.amdhsa_user_sgpr_dispatch_id 0
		.amdhsa_user_sgpr_private_segment_size 0
		.amdhsa_wavefront_size32 1
		.amdhsa_uses_dynamic_stack 0
		.amdhsa_enable_private_segment 0
		.amdhsa_system_sgpr_workgroup_id_x 1
		.amdhsa_system_sgpr_workgroup_id_y 1
		.amdhsa_system_sgpr_workgroup_id_z 0
		.amdhsa_system_sgpr_workgroup_info 0
		.amdhsa_system_vgpr_workitem_id 1
		.amdhsa_next_free_vgpr 83
		.amdhsa_next_free_sgpr 37
		.amdhsa_reserve_vcc 1
		.amdhsa_float_round_mode_32 0
		.amdhsa_float_round_mode_16_64 0
		.amdhsa_float_denorm_mode_32 3
		.amdhsa_float_denorm_mode_16_64 3
		.amdhsa_dx10_clamp 1
		.amdhsa_ieee_mode 1
		.amdhsa_fp16_overflow 0
		.amdhsa_workgroup_processor_mode 1
		.amdhsa_memory_ordered 1
		.amdhsa_forward_progress 0
		.amdhsa_shared_vgpr_count 0
		.amdhsa_exception_fp_ieee_invalid_op 0
		.amdhsa_exception_fp_denorm_src 0
		.amdhsa_exception_fp_ieee_div_zero 0
		.amdhsa_exception_fp_ieee_overflow 0
		.amdhsa_exception_fp_ieee_underflow 0
		.amdhsa_exception_fp_ieee_inexact 0
		.amdhsa_exception_int_div_zero 0
	.end_amdhsa_kernel
	.text
.Lfunc_end2:
	.size	_Z31matrix_multiply_register_tilingPfS_S_iii, .Lfunc_end2-_Z31matrix_multiply_register_tilingPfS_S_iii
                                        ; -- End function
	.section	.AMDGPU.csdata,"",@progbits
; Kernel info:
; codeLenInByte = 5456
; NumSgprs: 39
; NumVgprs: 83
; ScratchSize: 0
; MemoryBound: 0
; FloatMode: 240
; IeeeMode: 1
; LDSByteSize: 7168 bytes/workgroup (compile time only)
; SGPRBlocks: 4
; VGPRBlocks: 10
; NumSGPRsForWavesPerEU: 39
; NumVGPRsForWavesPerEU: 83
; Occupancy: 16
; WaveLimiterHint : 0
; COMPUTE_PGM_RSRC2:SCRATCH_EN: 0
; COMPUTE_PGM_RSRC2:USER_SGPR: 14
; COMPUTE_PGM_RSRC2:TRAP_HANDLER: 0
; COMPUTE_PGM_RSRC2:TGID_X_EN: 1
; COMPUTE_PGM_RSRC2:TGID_Y_EN: 1
; COMPUTE_PGM_RSRC2:TGID_Z_EN: 0
; COMPUTE_PGM_RSRC2:TIDIG_COMP_CNT: 1
	.text
	.p2alignl 7, 3214868480
	.fill 96, 4, 3214868480
	.type	__hip_cuid_2b4fb0b3239123ce,@object ; @__hip_cuid_2b4fb0b3239123ce
	.section	.bss,"aw",@nobits
	.globl	__hip_cuid_2b4fb0b3239123ce
__hip_cuid_2b4fb0b3239123ce:
	.byte	0                               ; 0x0
	.size	__hip_cuid_2b4fb0b3239123ce, 1

	.ident	"AMD clang version 19.0.0git (https://github.com/RadeonOpenCompute/llvm-project roc-6.4.0 25133 c7fe45cf4b819c5991fe208aaa96edf142730f1d)"
	.section	".note.GNU-stack","",@progbits
	.addrsig
	.addrsig_sym __hip_cuid_2b4fb0b3239123ce
	.amdgpu_metadata
---
amdhsa.kernels:
  - .args:
      - .address_space:  global
        .offset:         0
        .size:           8
        .value_kind:     global_buffer
      - .address_space:  global
        .offset:         8
        .size:           8
        .value_kind:     global_buffer
      - .address_space:  global
        .offset:         16
        .size:           8
        .value_kind:     global_buffer
      - .offset:         24
        .size:           4
        .value_kind:     by_value
      - .offset:         28
        .size:           4
        .value_kind:     by_value
      - .offset:         32
        .size:           4
        .value_kind:     by_value
      - .offset:         40
        .size:           4
        .value_kind:     hidden_block_count_x
      - .offset:         44
        .size:           4
        .value_kind:     hidden_block_count_y
      - .offset:         48
        .size:           4
        .value_kind:     hidden_block_count_z
      - .offset:         52
        .size:           2
        .value_kind:     hidden_group_size_x
      - .offset:         54
        .size:           2
        .value_kind:     hidden_group_size_y
      - .offset:         56
        .size:           2
        .value_kind:     hidden_group_size_z
      - .offset:         58
        .size:           2
        .value_kind:     hidden_remainder_x
      - .offset:         60
        .size:           2
        .value_kind:     hidden_remainder_y
      - .offset:         62
        .size:           2
        .value_kind:     hidden_remainder_z
      - .offset:         80
        .size:           8
        .value_kind:     hidden_global_offset_x
      - .offset:         88
        .size:           8
        .value_kind:     hidden_global_offset_y
      - .offset:         96
        .size:           8
        .value_kind:     hidden_global_offset_z
      - .offset:         104
        .size:           2
        .value_kind:     hidden_grid_dims
    .group_segment_fixed_size: 0
    .kernarg_segment_align: 8
    .kernarg_segment_size: 296
    .language:       OpenCL C
    .language_version:
      - 2
      - 0
    .max_flat_workgroup_size: 1024
    .name:           _Z21matrix_multiply_naivePfS_S_iii
    .private_segment_fixed_size: 0
    .sgpr_count:     18
    .sgpr_spill_count: 0
    .symbol:         _Z21matrix_multiply_naivePfS_S_iii.kd
    .uniform_work_group_size: 1
    .uses_dynamic_stack: false
    .vgpr_count:     9
    .vgpr_spill_count: 0
    .wavefront_size: 32
    .workgroup_processor_mode: 1
  - .args:
      - .address_space:  global
        .offset:         0
        .size:           8
        .value_kind:     global_buffer
      - .address_space:  global
        .offset:         8
        .size:           8
        .value_kind:     global_buffer
      - .address_space:  global
        .offset:         16
        .size:           8
        .value_kind:     global_buffer
      - .offset:         24
        .size:           4
        .value_kind:     by_value
      - .offset:         28
        .size:           4
        .value_kind:     by_value
      - .offset:         32
        .size:           4
        .value_kind:     by_value
    .group_segment_fixed_size: 2048
    .kernarg_segment_align: 8
    .kernarg_segment_size: 36
    .language:       OpenCL C
    .language_version:
      - 2
      - 0
    .max_flat_workgroup_size: 1024
    .name:           _Z26matrix_multiply_lds_tilingPfS_S_iii
    .private_segment_fixed_size: 0
    .sgpr_count:     18
    .sgpr_spill_count: 0
    .symbol:         _Z26matrix_multiply_lds_tilingPfS_S_iii.kd
    .uniform_work_group_size: 1
    .uses_dynamic_stack: false
    .vgpr_count:     26
    .vgpr_spill_count: 0
    .wavefront_size: 32
    .workgroup_processor_mode: 1
  - .args:
      - .address_space:  global
        .offset:         0
        .size:           8
        .value_kind:     global_buffer
      - .address_space:  global
        .offset:         8
        .size:           8
        .value_kind:     global_buffer
      - .address_space:  global
        .offset:         16
        .size:           8
        .value_kind:     global_buffer
      - .offset:         24
        .size:           4
        .value_kind:     by_value
      - .offset:         28
        .size:           4
        .value_kind:     by_value
      - .offset:         32
        .size:           4
        .value_kind:     by_value
      - .offset:         40
        .size:           4
        .value_kind:     hidden_block_count_x
      - .offset:         44
        .size:           4
        .value_kind:     hidden_block_count_y
      - .offset:         48
        .size:           4
        .value_kind:     hidden_block_count_z
      - .offset:         52
        .size:           2
        .value_kind:     hidden_group_size_x
      - .offset:         54
        .size:           2
        .value_kind:     hidden_group_size_y
      - .offset:         56
        .size:           2
        .value_kind:     hidden_group_size_z
      - .offset:         58
        .size:           2
        .value_kind:     hidden_remainder_x
      - .offset:         60
        .size:           2
        .value_kind:     hidden_remainder_y
      - .offset:         62
        .size:           2
        .value_kind:     hidden_remainder_z
      - .offset:         80
        .size:           8
        .value_kind:     hidden_global_offset_x
      - .offset:         88
        .size:           8
        .value_kind:     hidden_global_offset_y
      - .offset:         96
        .size:           8
        .value_kind:     hidden_global_offset_z
      - .offset:         104
        .size:           2
        .value_kind:     hidden_grid_dims
    .group_segment_fixed_size: 7168
    .kernarg_segment_align: 8
    .kernarg_segment_size: 296
    .language:       OpenCL C
    .language_version:
      - 2
      - 0
    .max_flat_workgroup_size: 1024
    .name:           _Z31matrix_multiply_register_tilingPfS_S_iii
    .private_segment_fixed_size: 0
    .sgpr_count:     39
    .sgpr_spill_count: 0
    .symbol:         _Z31matrix_multiply_register_tilingPfS_S_iii.kd
    .uniform_work_group_size: 1
    .uses_dynamic_stack: false
    .vgpr_count:     83
    .vgpr_spill_count: 0
    .wavefront_size: 32
    .workgroup_processor_mode: 1
amdhsa.target:   amdgcn-amd-amdhsa--gfx1100
amdhsa.version:
  - 1
  - 2
...

	.end_amdgpu_metadata
